;; amdgpu-corpus repo=ROCm/rocFFT kind=compiled arch=gfx906 opt=O3
	.text
	.amdgcn_target "amdgcn-amd-amdhsa--gfx906"
	.amdhsa_code_object_version 6
	.protected	fft_rtc_back_len476_factors_17_2_7_2_wgs_102_tpt_34_halfLds_sp_ip_CI_sbrr_dirReg ; -- Begin function fft_rtc_back_len476_factors_17_2_7_2_wgs_102_tpt_34_halfLds_sp_ip_CI_sbrr_dirReg
	.globl	fft_rtc_back_len476_factors_17_2_7_2_wgs_102_tpt_34_halfLds_sp_ip_CI_sbrr_dirReg
	.p2align	8
	.type	fft_rtc_back_len476_factors_17_2_7_2_wgs_102_tpt_34_halfLds_sp_ip_CI_sbrr_dirReg,@function
fft_rtc_back_len476_factors_17_2_7_2_wgs_102_tpt_34_halfLds_sp_ip_CI_sbrr_dirReg: ; @fft_rtc_back_len476_factors_17_2_7_2_wgs_102_tpt_34_halfLds_sp_ip_CI_sbrr_dirReg
; %bb.0:
	s_load_dwordx2 s[2:3], s[4:5], 0x18
	s_load_dwordx4 s[8:11], s[4:5], 0x0
	s_load_dwordx2 s[14:15], s[4:5], 0x50
	v_mul_u32_u24_e32 v1, 0x788, v0
	v_lshrrev_b32_e32 v1, 16, v1
	s_waitcnt lgkmcnt(0)
	s_load_dwordx2 s[12:13], s[2:3], 0x0
	v_mad_u64_u32 v[1:2], s[0:1], s6, 3, v[1:2]
	v_mov_b32_e32 v5, 0
	v_cmp_lt_u64_e64 s[0:1], s[10:11], 2
	v_mov_b32_e32 v2, v5
	v_mov_b32_e32 v3, 0
	;; [unrolled: 1-line block ×3, first 2 shown]
	s_and_b64 vcc, exec, s[0:1]
	v_mov_b32_e32 v4, 0
	v_mov_b32_e32 v9, v1
	s_cbranch_vccnz .LBB0_8
; %bb.1:
	s_load_dwordx2 s[0:1], s[4:5], 0x10
	s_add_u32 s6, s2, 8
	s_addc_u32 s7, s3, 0
	v_mov_b32_e32 v3, 0
	v_mov_b32_e32 v8, v2
	s_waitcnt lgkmcnt(0)
	s_add_u32 s18, s0, 8
	s_mov_b64 s[16:17], 1
	v_mov_b32_e32 v4, 0
	s_addc_u32 s19, s1, 0
	v_mov_b32_e32 v7, v1
.LBB0_2:                                ; =>This Inner Loop Header: Depth=1
	s_load_dwordx2 s[20:21], s[18:19], 0x0
                                        ; implicit-def: $vgpr9_vgpr10
	s_waitcnt lgkmcnt(0)
	v_or_b32_e32 v6, s21, v8
	v_cmp_ne_u64_e32 vcc, 0, v[5:6]
	s_and_saveexec_b64 s[0:1], vcc
	s_xor_b64 s[22:23], exec, s[0:1]
	s_cbranch_execz .LBB0_4
; %bb.3:                                ;   in Loop: Header=BB0_2 Depth=1
	v_cvt_f32_u32_e32 v2, s20
	v_cvt_f32_u32_e32 v6, s21
	s_sub_u32 s0, 0, s20
	s_subb_u32 s1, 0, s21
	v_mac_f32_e32 v2, 0x4f800000, v6
	v_rcp_f32_e32 v2, v2
	v_mul_f32_e32 v2, 0x5f7ffffc, v2
	v_mul_f32_e32 v6, 0x2f800000, v2
	v_trunc_f32_e32 v6, v6
	v_mac_f32_e32 v2, 0xcf800000, v6
	v_cvt_u32_f32_e32 v6, v6
	v_cvt_u32_f32_e32 v2, v2
	v_mul_lo_u32 v9, s0, v6
	v_mul_hi_u32 v10, s0, v2
	v_mul_lo_u32 v12, s1, v2
	v_mul_lo_u32 v11, s0, v2
	v_add_u32_e32 v9, v10, v9
	v_add_u32_e32 v9, v9, v12
	v_mul_hi_u32 v10, v2, v11
	v_mul_lo_u32 v12, v2, v9
	v_mul_hi_u32 v14, v2, v9
	v_mul_hi_u32 v13, v6, v11
	v_mul_lo_u32 v11, v6, v11
	v_mul_hi_u32 v15, v6, v9
	v_add_co_u32_e32 v10, vcc, v10, v12
	v_addc_co_u32_e32 v12, vcc, 0, v14, vcc
	v_mul_lo_u32 v9, v6, v9
	v_add_co_u32_e32 v10, vcc, v10, v11
	v_addc_co_u32_e32 v10, vcc, v12, v13, vcc
	v_addc_co_u32_e32 v11, vcc, 0, v15, vcc
	v_add_co_u32_e32 v9, vcc, v10, v9
	v_addc_co_u32_e32 v10, vcc, 0, v11, vcc
	v_add_co_u32_e32 v2, vcc, v2, v9
	v_addc_co_u32_e32 v6, vcc, v6, v10, vcc
	v_mul_lo_u32 v9, s0, v6
	v_mul_hi_u32 v10, s0, v2
	v_mul_lo_u32 v11, s1, v2
	v_mul_lo_u32 v12, s0, v2
	v_add_u32_e32 v9, v10, v9
	v_add_u32_e32 v9, v9, v11
	v_mul_lo_u32 v13, v2, v9
	v_mul_hi_u32 v14, v2, v12
	v_mul_hi_u32 v15, v2, v9
	;; [unrolled: 1-line block ×3, first 2 shown]
	v_mul_lo_u32 v12, v6, v12
	v_mul_hi_u32 v10, v6, v9
	v_add_co_u32_e32 v13, vcc, v14, v13
	v_addc_co_u32_e32 v14, vcc, 0, v15, vcc
	v_mul_lo_u32 v9, v6, v9
	v_add_co_u32_e32 v12, vcc, v13, v12
	v_addc_co_u32_e32 v11, vcc, v14, v11, vcc
	v_addc_co_u32_e32 v10, vcc, 0, v10, vcc
	v_add_co_u32_e32 v9, vcc, v11, v9
	v_addc_co_u32_e32 v10, vcc, 0, v10, vcc
	v_add_co_u32_e32 v2, vcc, v2, v9
	v_addc_co_u32_e32 v6, vcc, v6, v10, vcc
	v_mad_u64_u32 v[9:10], s[0:1], v7, v6, 0
	v_mul_hi_u32 v11, v7, v2
	v_add_co_u32_e32 v13, vcc, v11, v9
	v_addc_co_u32_e32 v14, vcc, 0, v10, vcc
	v_mad_u64_u32 v[9:10], s[0:1], v8, v2, 0
	v_mad_u64_u32 v[11:12], s[0:1], v8, v6, 0
	v_add_co_u32_e32 v2, vcc, v13, v9
	v_addc_co_u32_e32 v2, vcc, v14, v10, vcc
	v_addc_co_u32_e32 v6, vcc, 0, v12, vcc
	v_add_co_u32_e32 v2, vcc, v2, v11
	v_addc_co_u32_e32 v6, vcc, 0, v6, vcc
	v_mul_lo_u32 v11, s21, v2
	v_mul_lo_u32 v12, s20, v6
	v_mad_u64_u32 v[9:10], s[0:1], s20, v2, 0
	v_add3_u32 v10, v10, v12, v11
	v_sub_u32_e32 v11, v8, v10
	v_mov_b32_e32 v12, s21
	v_sub_co_u32_e32 v9, vcc, v7, v9
	v_subb_co_u32_e64 v11, s[0:1], v11, v12, vcc
	v_subrev_co_u32_e64 v12, s[0:1], s20, v9
	v_subbrev_co_u32_e64 v11, s[0:1], 0, v11, s[0:1]
	v_cmp_le_u32_e64 s[0:1], s21, v11
	v_cndmask_b32_e64 v13, 0, -1, s[0:1]
	v_cmp_le_u32_e64 s[0:1], s20, v12
	v_cndmask_b32_e64 v12, 0, -1, s[0:1]
	v_cmp_eq_u32_e64 s[0:1], s21, v11
	v_cndmask_b32_e64 v11, v13, v12, s[0:1]
	v_add_co_u32_e64 v12, s[0:1], 2, v2
	v_addc_co_u32_e64 v13, s[0:1], 0, v6, s[0:1]
	v_add_co_u32_e64 v14, s[0:1], 1, v2
	v_addc_co_u32_e64 v15, s[0:1], 0, v6, s[0:1]
	v_subb_co_u32_e32 v10, vcc, v8, v10, vcc
	v_cmp_ne_u32_e64 s[0:1], 0, v11
	v_cmp_le_u32_e32 vcc, s21, v10
	v_cndmask_b32_e64 v11, v15, v13, s[0:1]
	v_cndmask_b32_e64 v13, 0, -1, vcc
	v_cmp_le_u32_e32 vcc, s20, v9
	v_cndmask_b32_e64 v9, 0, -1, vcc
	v_cmp_eq_u32_e32 vcc, s21, v10
	v_cndmask_b32_e32 v9, v13, v9, vcc
	v_cmp_ne_u32_e32 vcc, 0, v9
	v_cndmask_b32_e32 v10, v6, v11, vcc
	v_cndmask_b32_e64 v6, v14, v12, s[0:1]
	v_cndmask_b32_e32 v9, v2, v6, vcc
.LBB0_4:                                ;   in Loop: Header=BB0_2 Depth=1
	s_andn2_saveexec_b64 s[0:1], s[22:23]
	s_cbranch_execz .LBB0_6
; %bb.5:                                ;   in Loop: Header=BB0_2 Depth=1
	v_cvt_f32_u32_e32 v2, s20
	s_sub_i32 s22, 0, s20
	v_rcp_iflag_f32_e32 v2, v2
	v_mul_f32_e32 v2, 0x4f7ffffe, v2
	v_cvt_u32_f32_e32 v2, v2
	v_mul_lo_u32 v6, s22, v2
	v_mul_hi_u32 v6, v2, v6
	v_add_u32_e32 v2, v2, v6
	v_mul_hi_u32 v2, v7, v2
	v_mul_lo_u32 v6, v2, s20
	v_add_u32_e32 v9, 1, v2
	v_sub_u32_e32 v6, v7, v6
	v_subrev_u32_e32 v10, s20, v6
	v_cmp_le_u32_e32 vcc, s20, v6
	v_cndmask_b32_e32 v6, v6, v10, vcc
	v_cndmask_b32_e32 v2, v2, v9, vcc
	v_add_u32_e32 v9, 1, v2
	v_cmp_le_u32_e32 vcc, s20, v6
	v_cndmask_b32_e32 v9, v2, v9, vcc
	v_mov_b32_e32 v10, v5
.LBB0_6:                                ;   in Loop: Header=BB0_2 Depth=1
	s_or_b64 exec, exec, s[0:1]
	v_mul_lo_u32 v2, v10, s20
	v_mul_lo_u32 v6, v9, s21
	v_mad_u64_u32 v[11:12], s[0:1], v9, s20, 0
	s_load_dwordx2 s[0:1], s[6:7], 0x0
	s_add_u32 s16, s16, 1
	v_add3_u32 v2, v12, v6, v2
	v_sub_co_u32_e32 v6, vcc, v7, v11
	v_subb_co_u32_e32 v2, vcc, v8, v2, vcc
	s_waitcnt lgkmcnt(0)
	v_mul_lo_u32 v2, s0, v2
	v_mul_lo_u32 v7, s1, v6
	v_mad_u64_u32 v[3:4], s[0:1], s0, v6, v[3:4]
	s_addc_u32 s17, s17, 0
	s_add_u32 s6, s6, 8
	v_add3_u32 v4, v7, v4, v2
	v_mov_b32_e32 v6, s10
	v_mov_b32_e32 v7, s11
	s_addc_u32 s7, s7, 0
	v_cmp_ge_u64_e32 vcc, s[16:17], v[6:7]
	s_add_u32 s18, s18, 8
	s_addc_u32 s19, s19, 0
	s_cbranch_vccnz .LBB0_8
; %bb.7:                                ;   in Loop: Header=BB0_2 Depth=1
	v_mov_b32_e32 v7, v9
	v_mov_b32_e32 v8, v10
	s_branch .LBB0_2
.LBB0_8:
	s_lshl_b64 s[0:1], s[10:11], 3
	s_add_u32 s0, s2, s0
	s_addc_u32 s1, s3, s1
	s_load_dwordx2 s[2:3], s[0:1], 0x0
	s_load_dwordx2 s[6:7], s[4:5], 0x20
	v_mov_b32_e32 v29, 0
	v_mov_b32_e32 v28, 0
                                        ; implicit-def: $vgpr35
                                        ; implicit-def: $vgpr31
                                        ; implicit-def: $vgpr25
                                        ; implicit-def: $vgpr21
                                        ; implicit-def: $vgpr17
                                        ; implicit-def: $vgpr13
                                        ; implicit-def: $vgpr7
                                        ; implicit-def: $vgpr11
                                        ; implicit-def: $vgpr15
                                        ; implicit-def: $vgpr19
                                        ; implicit-def: $vgpr37
                                        ; implicit-def: $vgpr33
                                        ; implicit-def: $vgpr27
                                        ; implicit-def: $vgpr23
	s_waitcnt lgkmcnt(0)
	v_mad_u64_u32 v[2:3], s[0:1], s2, v9, v[3:4]
	s_mov_b32 s0, 0x7878788
	v_mul_hi_u32 v4, v0, s0
	v_mul_lo_u32 v5, s2, v10
	v_mul_lo_u32 v6, s3, v9
	v_cmp_gt_u64_e32 vcc, s[6:7], v[9:10]
	v_mul_u32_u24_e32 v4, 34, v4
	v_sub_u32_e32 v0, v0, v4
	v_add3_u32 v3, v6, v3, v5
	v_cmp_gt_u32_e64 s[0:1], 28, v0
	v_lshlrev_b64 v[2:3], 3, v[2:3]
	s_and_b64 s[2:3], vcc, s[0:1]
                                        ; implicit-def: $vgpr9
                                        ; implicit-def: $vgpr5
	s_and_saveexec_b64 s[4:5], s[2:3]
	s_cbranch_execz .LBB0_10
; %bb.9:
	v_mad_u64_u32 v[4:5], s[2:3], s12, v0, 0
	v_add_u32_e32 v9, 28, v0
	v_mov_b32_e32 v8, s15
	v_mad_u64_u32 v[5:6], s[2:3], s13, v0, v[5:6]
	v_mad_u64_u32 v[6:7], s[2:3], s12, v9, 0
	v_add_co_u32_e64 v12, s[2:3], s14, v2
	v_addc_co_u32_e64 v13, s[2:3], v8, v3, s[2:3]
	v_mad_u64_u32 v[7:8], s[2:3], s13, v9, v[7:8]
	v_add_u32_e32 v10, 56, v0
	v_mad_u64_u32 v[8:9], s[2:3], s12, v10, 0
	v_lshlrev_b64 v[4:5], 3, v[4:5]
	v_add_co_u32_e64 v32, s[2:3], v12, v4
	v_addc_co_u32_e64 v33, s[2:3], v13, v5, s[2:3]
	v_lshlrev_b64 v[4:5], 3, v[6:7]
	v_mov_b32_e32 v6, v9
	v_mad_u64_u32 v[6:7], s[2:3], s13, v10, v[6:7]
	v_add_u32_e32 v7, 0x54, v0
	v_mad_u64_u32 v[10:11], s[2:3], s12, v7, 0
	v_add_co_u32_e64 v36, s[2:3], v12, v4
	v_mov_b32_e32 v9, v6
	v_mov_b32_e32 v6, v11
	v_addc_co_u32_e64 v37, s[2:3], v13, v5, s[2:3]
	v_lshlrev_b64 v[4:5], 3, v[8:9]
	v_mad_u64_u32 v[6:7], s[2:3], s13, v7, v[6:7]
	v_add_u32_e32 v9, 0x70, v0
	v_mad_u64_u32 v[7:8], s[2:3], s12, v9, 0
	v_add_co_u32_e64 v38, s[2:3], v12, v4
	v_mov_b32_e32 v11, v6
	v_mov_b32_e32 v6, v8
	v_addc_co_u32_e64 v39, s[2:3], v13, v5, s[2:3]
	v_lshlrev_b64 v[4:5], 3, v[10:11]
	v_mad_u64_u32 v[8:9], s[2:3], s13, v9, v[6:7]
	v_add_u32_e32 v11, 0x8c, v0
	v_mad_u64_u32 v[9:10], s[2:3], s12, v11, 0
	v_add_co_u32_e64 v40, s[2:3], v12, v4
	v_mov_b32_e32 v6, v10
	v_addc_co_u32_e64 v41, s[2:3], v13, v5, s[2:3]
	v_lshlrev_b64 v[4:5], 3, v[7:8]
	v_mad_u64_u32 v[6:7], s[2:3], s13, v11, v[6:7]
	v_add_u32_e32 v11, 0xa8, v0
	v_mad_u64_u32 v[7:8], s[2:3], s12, v11, 0
	v_add_co_u32_e64 v42, s[2:3], v12, v4
	v_mov_b32_e32 v10, v6
	v_mov_b32_e32 v6, v8
	v_addc_co_u32_e64 v43, s[2:3], v13, v5, s[2:3]
	v_lshlrev_b64 v[4:5], 3, v[9:10]
	v_mad_u64_u32 v[8:9], s[2:3], s13, v11, v[6:7]
	v_add_u32_e32 v11, 0xc4, v0
	v_mad_u64_u32 v[9:10], s[2:3], s12, v11, 0
	v_add_co_u32_e64 v44, s[2:3], v12, v4
	v_mov_b32_e32 v6, v10
	v_addc_co_u32_e64 v45, s[2:3], v13, v5, s[2:3]
	v_lshlrev_b64 v[4:5], 3, v[7:8]
	v_mad_u64_u32 v[6:7], s[2:3], s13, v11, v[6:7]
	v_or_b32_e32 v11, 0xe0, v0
	v_mad_u64_u32 v[7:8], s[2:3], s12, v11, 0
	v_add_co_u32_e64 v46, s[2:3], v12, v4
	v_mov_b32_e32 v10, v6
	v_mov_b32_e32 v6, v8
	v_addc_co_u32_e64 v47, s[2:3], v13, v5, s[2:3]
	v_lshlrev_b64 v[4:5], 3, v[9:10]
	v_mad_u64_u32 v[8:9], s[2:3], s13, v11, v[6:7]
	v_add_u32_e32 v11, 0xfc, v0
	v_mad_u64_u32 v[9:10], s[2:3], s12, v11, 0
	v_add_co_u32_e64 v48, s[2:3], v12, v4
	v_mov_b32_e32 v6, v10
	v_addc_co_u32_e64 v49, s[2:3], v13, v5, s[2:3]
	v_lshlrev_b64 v[4:5], 3, v[7:8]
	v_mad_u64_u32 v[6:7], s[2:3], s13, v11, v[6:7]
	v_add_u32_e32 v11, 0x118, v0
	v_mad_u64_u32 v[7:8], s[2:3], s12, v11, 0
	v_add_co_u32_e64 v50, s[2:3], v12, v4
	v_mov_b32_e32 v10, v6
	v_mov_b32_e32 v6, v8
	v_addc_co_u32_e64 v51, s[2:3], v13, v5, s[2:3]
	v_lshlrev_b64 v[4:5], 3, v[9:10]
	v_mad_u64_u32 v[8:9], s[2:3], s13, v11, v[6:7]
	v_add_u32_e32 v11, 0x134, v0
	v_mad_u64_u32 v[9:10], s[2:3], s12, v11, 0
	v_add_co_u32_e64 v52, s[2:3], v12, v4
	v_mov_b32_e32 v6, v10
	v_addc_co_u32_e64 v53, s[2:3], v13, v5, s[2:3]
	v_lshlrev_b64 v[4:5], 3, v[7:8]
	v_mad_u64_u32 v[6:7], s[2:3], s13, v11, v[6:7]
	v_add_u32_e32 v11, 0x150, v0
	v_mad_u64_u32 v[7:8], s[2:3], s12, v11, 0
	v_add_co_u32_e64 v54, s[2:3], v12, v4
	v_mov_b32_e32 v10, v6
	v_mov_b32_e32 v6, v8
	v_addc_co_u32_e64 v55, s[2:3], v13, v5, s[2:3]
	v_lshlrev_b64 v[4:5], 3, v[9:10]
	v_mad_u64_u32 v[8:9], s[2:3], s13, v11, v[6:7]
	v_add_u32_e32 v11, 0x16c, v0
	v_mad_u64_u32 v[9:10], s[2:3], s12, v11, 0
	v_add_co_u32_e64 v56, s[2:3], v12, v4
	v_mov_b32_e32 v6, v10
	v_addc_co_u32_e64 v57, s[2:3], v13, v5, s[2:3]
	v_lshlrev_b64 v[4:5], 3, v[7:8]
	v_mad_u64_u32 v[6:7], s[2:3], s13, v11, v[6:7]
	v_add_u32_e32 v11, 0x188, v0
	v_mad_u64_u32 v[7:8], s[2:3], s12, v11, 0
	v_add_co_u32_e64 v58, s[2:3], v12, v4
	v_mov_b32_e32 v10, v6
	v_mov_b32_e32 v6, v8
	v_addc_co_u32_e64 v59, s[2:3], v13, v5, s[2:3]
	v_lshlrev_b64 v[4:5], 3, v[9:10]
	v_mad_u64_u32 v[8:9], s[2:3], s13, v11, v[6:7]
	v_add_u32_e32 v11, 0x1a4, v0
	v_mad_u64_u32 v[9:10], s[2:3], s12, v11, 0
	v_add_co_u32_e64 v60, s[2:3], v12, v4
	v_mov_b32_e32 v6, v10
	v_addc_co_u32_e64 v61, s[2:3], v13, v5, s[2:3]
	v_lshlrev_b64 v[4:5], 3, v[7:8]
	v_mad_u64_u32 v[6:7], s[2:3], s13, v11, v[6:7]
	v_or_b32_e32 v11, 0x1c0, v0
	v_mad_u64_u32 v[7:8], s[2:3], s12, v11, 0
	v_add_co_u32_e64 v62, s[2:3], v12, v4
	v_mov_b32_e32 v10, v6
	v_mov_b32_e32 v6, v8
	v_addc_co_u32_e64 v63, s[2:3], v13, v5, s[2:3]
	v_lshlrev_b64 v[4:5], 3, v[9:10]
	v_mad_u64_u32 v[8:9], s[2:3], s13, v11, v[6:7]
	v_add_co_u32_e64 v64, s[2:3], v12, v4
	v_addc_co_u32_e64 v65, s[2:3], v13, v5, s[2:3]
	v_lshlrev_b64 v[4:5], 3, v[7:8]
	v_add_co_u32_e64 v66, s[2:3], v12, v4
	v_addc_co_u32_e64 v67, s[2:3], v13, v5, s[2:3]
	global_load_dwordx2 v[28:29], v[32:33], off
	global_load_dwordx2 v[34:35], v[36:37], off
	;; [unrolled: 1-line block ×15, first 2 shown]
                                        ; kill: killed $vgpr60 killed $vgpr61
                                        ; kill: killed $vgpr50 killed $vgpr51
                                        ; kill: killed $vgpr40 killed $vgpr41
                                        ; kill: killed $vgpr54 killed $vgpr55
                                        ; kill: killed $vgpr44 killed $vgpr45
                                        ; kill: killed $vgpr32 killed $vgpr33
                                        ; kill: killed $vgpr58 killed $vgpr59
                                        ; kill: killed $vgpr48 killed $vgpr49
                                        ; kill: killed $vgpr38 killed $vgpr39
                                        ; kill: killed $vgpr62 killed $vgpr63
                                        ; kill: killed $vgpr52 killed $vgpr53
                                        ; kill: killed $vgpr42 killed $vgpr43
                                        ; kill: killed $vgpr56 killed $vgpr57
                                        ; kill: killed $vgpr46 killed $vgpr47
                                        ; kill: killed $vgpr36 killed $vgpr37
	global_load_dwordx2 v[32:33], v[64:65], off
	global_load_dwordx2 v[36:37], v[66:67], off
.LBB0_10:
	s_or_b64 exec, exec, s[4:5]
	s_mov_b32 s2, 0xaaaaaaab
	v_mul_hi_u32 v38, v1, s2
	v_lshrrev_b32_e32 v38, 1, v38
	v_lshl_add_u32 v38, v38, 1, v38
	v_sub_u32_e32 v1, v1, v38
	v_mul_u32_u24_e32 v1, 0x1dc, v1
	v_lshlrev_b32_e32 v1, 2, v1
	s_and_saveexec_b64 s[2:3], s[0:1]
	s_cbranch_execz .LBB0_12
; %bb.11:
	s_waitcnt vmcnt(0)
	v_add_f32_e32 v43, v34, v36
	v_sub_f32_e32 v38, v35, v37
	v_add_f32_e32 v44, v30, v32
	v_mul_f32_e32 v48, 0x3f6eb680, v43
	v_sub_f32_e32 v39, v31, v33
	v_add_f32_e32 v45, v24, v26
	v_mov_b32_e32 v53, v48
	v_mul_f32_e32 v49, 0x3f3d2fb0, v44
	v_fmac_f32_e32 v48, 0xbeb8f4ab, v38
	v_sub_f32_e32 v40, v25, v27
	v_add_f32_e32 v46, v20, v22
	v_mov_b32_e32 v54, v49
	v_mul_f32_e32 v50, 0x3ee437d1, v45
	v_add_f32_e32 v48, v28, v48
	v_fmac_f32_e32 v49, 0xbf2c7751, v39
	v_sub_f32_e32 v41, v21, v23
	v_mov_b32_e32 v55, v50
	v_add_f32_e32 v48, v48, v49
	v_mul_f32_e32 v49, 0x3dbcf732, v46
	v_fmac_f32_e32 v50, 0xbf65296c, v40
	v_add_f32_e32 v47, v16, v18
	v_add_f32_e32 v48, v48, v50
	v_mov_b32_e32 v56, v49
	v_fmac_f32_e32 v49, 0xbf7ee86f, v41
	v_sub_f32_e32 v42, v17, v19
	v_add_f32_e32 v48, v48, v49
	v_mul_f32_e32 v49, 0xbe8c1d8e, v47
	v_mov_b32_e32 v57, v49
	v_fmac_f32_e32 v49, 0xbf763a35, v42
	v_add_f32_e32 v58, v12, v14
	v_add_f32_e32 v48, v49, v48
	v_sub_f32_e32 v59, v13, v15
	v_mul_f32_e32 v49, 0xbf1a4643, v58
	v_mov_b32_e32 v60, v49
	v_fmac_f32_e32 v49, 0xbf4c4adb, v59
	v_add_f32_e32 v61, v8, v10
	v_add_f32_e32 v48, v49, v48
	v_sub_f32_e32 v62, v9, v11
	v_mul_f32_e32 v49, 0xbf59a7d5, v61
	v_mov_b32_e32 v63, v49
	v_fmac_f32_e32 v49, 0xbf06c442, v62
	v_add_f32_e32 v64, v4, v6
	v_add_f32_e32 v48, v49, v48
	v_sub_f32_e32 v65, v5, v7
	v_mul_f32_e32 v49, 0xbf7ba420, v64
	v_mov_b32_e32 v66, v49
	v_fmac_f32_e32 v49, 0xbe3c28d5, v65
	v_add_f32_e32 v49, v49, v48
	v_add_f32_e32 v48, v28, v34
	;; [unrolled: 1-line block ×17, first 2 shown]
	v_mul_u32_u24_e32 v48, 0x44, v0
	v_add3_u32 v48, 0, v48, v1
	ds_write2_b32 v48, v50, v49 offset1:1
	v_mul_f32_e32 v50, 0xbf7ba420, v43
	v_mov_b32_e32 v49, v50
	v_mul_f32_e32 v51, 0x3f6eb680, v44
	v_fmac_f32_e32 v49, 0x3e3c28d5, v38
	v_mov_b32_e32 v52, v51
	v_add_f32_e32 v49, v28, v49
	v_fmac_f32_e32 v52, 0xbeb8f4ab, v39
	v_add_f32_e32 v49, v49, v52
	v_mul_f32_e32 v52, 0xbf59a7d5, v45
	v_mov_b32_e32 v67, v52
	v_fmac_f32_e32 v67, 0x3f06c442, v40
	v_add_f32_e32 v49, v49, v67
	v_mul_f32_e32 v67, 0x3f3d2fb0, v46
	v_mov_b32_e32 v68, v67
	;; [unrolled: 4-line block ×3, first 2 shown]
	v_fmac_f32_e32 v69, 0x3f4c4adb, v42
	v_add_f32_e32 v49, v69, v49
	v_mul_f32_e32 v69, 0x3ee437d1, v58
	v_fmac_f32_e32 v50, 0xbe3c28d5, v38
	v_mov_b32_e32 v70, v69
	v_add_f32_e32 v50, v28, v50
	v_fmac_f32_e32 v51, 0x3eb8f4ab, v39
	v_fmac_f32_e32 v70, 0xbf65296c, v59
	v_add_f32_e32 v50, v50, v51
	v_fmac_f32_e32 v52, 0xbf06c442, v40
	v_add_f32_e32 v49, v70, v49
	v_mul_f32_e32 v70, 0xbe8c1d8e, v61
	v_add_f32_e32 v50, v50, v52
	v_fmac_f32_e32 v67, 0x3f2c7751, v41
	v_mov_b32_e32 v71, v70
	v_add_f32_e32 v50, v50, v67
	v_fmac_f32_e32 v68, 0xbf4c4adb, v42
	v_fmac_f32_e32 v71, 0x3f763a35, v62
	v_add_f32_e32 v50, v68, v50
	v_fmac_f32_e32 v69, 0x3f65296c, v59
	v_add_f32_e32 v49, v71, v49
	v_mul_f32_e32 v71, 0x3dbcf732, v64
	v_add_f32_e32 v50, v69, v50
	v_fmac_f32_e32 v70, 0xbf763a35, v62
	v_mov_b32_e32 v72, v71
	v_add_f32_e32 v50, v70, v50
	v_fmac_f32_e32 v71, 0x3f7ee86f, v65
	v_mul_f32_e32 v52, 0xbf59a7d5, v43
	v_add_f32_e32 v51, v71, v50
	v_mov_b32_e32 v50, v52
	v_mul_f32_e32 v67, 0x3ee437d1, v44
	v_fmac_f32_e32 v50, 0x3f06c442, v38
	v_mov_b32_e32 v68, v67
	v_add_f32_e32 v50, v28, v50
	v_fmac_f32_e32 v68, 0xbf65296c, v39
	v_add_f32_e32 v50, v50, v68
	v_mul_f32_e32 v68, 0x3dbcf732, v45
	v_mov_b32_e32 v69, v68
	v_fmac_f32_e32 v69, 0x3f7ee86f, v40
	v_add_f32_e32 v50, v50, v69
	v_mul_f32_e32 v69, 0xbf1a4643, v46
	v_mov_b32_e32 v70, v69
	;; [unrolled: 4-line block ×3, first 2 shown]
	v_fmac_f32_e32 v71, 0x3eb8f4ab, v42
	v_fmac_f32_e32 v72, 0xbf7ee86f, v65
	v_add_f32_e32 v50, v71, v50
	v_mul_f32_e32 v71, 0xbf7ba420, v58
	v_fmac_f32_e32 v52, 0xbf06c442, v38
	v_add_f32_e32 v49, v72, v49
	v_mov_b32_e32 v72, v71
	v_add_f32_e32 v52, v28, v52
	v_fmac_f32_e32 v67, 0x3f65296c, v39
	v_fmac_f32_e32 v72, 0x3e3c28d5, v59
	v_add_f32_e32 v52, v52, v67
	v_fmac_f32_e32 v68, 0xbf7ee86f, v40
	v_add_f32_e32 v50, v72, v50
	v_mul_f32_e32 v72, 0x3f3d2fb0, v61
	v_add_f32_e32 v52, v52, v68
	v_fmac_f32_e32 v69, 0x3f4c4adb, v41
	v_mov_b32_e32 v73, v72
	v_add_f32_e32 v52, v52, v69
	v_fmac_f32_e32 v70, 0xbeb8f4ab, v42
	v_fmac_f32_e32 v73, 0xbf2c7751, v62
	v_add_f32_e32 v52, v70, v52
	v_fmac_f32_e32 v71, 0xbe3c28d5, v59
	v_add_f32_e32 v50, v73, v50
	v_mul_f32_e32 v73, 0xbe8c1d8e, v64
	v_add_f32_e32 v52, v71, v52
	v_fmac_f32_e32 v72, 0x3f2c7751, v62
	v_mov_b32_e32 v74, v73
	v_add_f32_e32 v52, v72, v52
	v_fmac_f32_e32 v73, 0xbf763a35, v65
	v_add_f32_e32 v67, v73, v52
	v_mul_f32_e32 v52, 0xbf1a4643, v43
	v_mov_b32_e32 v68, v52
	v_mul_f32_e32 v69, 0xbe8c1d8e, v44
	v_fmac_f32_e32 v68, 0x3f4c4adb, v38
	v_mov_b32_e32 v70, v69
	v_add_f32_e32 v68, v28, v68
	v_fmac_f32_e32 v70, 0xbf763a35, v39
	v_add_f32_e32 v68, v68, v70
	v_mul_f32_e32 v70, 0x3f6eb680, v45
	v_mov_b32_e32 v71, v70
	v_fmac_f32_e32 v71, 0x3eb8f4ab, v40
	v_add_f32_e32 v68, v68, v71
	v_mul_f32_e32 v71, 0xbf59a7d5, v46
	v_mov_b32_e32 v72, v71
	v_fmac_f32_e32 v72, 0x3f06c442, v41
	v_add_f32_e32 v68, v68, v72
	v_mul_f32_e32 v72, 0x3dbcf732, v47
	v_mov_b32_e32 v73, v72
	v_fmac_f32_e32 v73, 0xbf7ee86f, v42
	v_fmac_f32_e32 v74, 0x3f763a35, v65
	v_add_f32_e32 v68, v73, v68
	v_mul_f32_e32 v73, 0x3f3d2fb0, v58
	v_fmac_f32_e32 v52, 0xbf4c4adb, v38
	v_add_f32_e32 v50, v74, v50
	v_mov_b32_e32 v74, v73
	v_add_f32_e32 v52, v28, v52
	v_fmac_f32_e32 v69, 0x3f763a35, v39
	v_fmac_f32_e32 v74, 0x3f2c7751, v59
	v_add_f32_e32 v52, v52, v69
	v_fmac_f32_e32 v70, 0xbeb8f4ab, v40
	v_add_f32_e32 v68, v74, v68
	v_mul_f32_e32 v74, 0xbf7ba420, v61
	v_add_f32_e32 v52, v52, v70
	v_fmac_f32_e32 v71, 0xbf06c442, v41
	v_mov_b32_e32 v75, v74
	v_add_f32_e32 v52, v52, v71
	v_fmac_f32_e32 v72, 0x3f7ee86f, v42
	v_fmac_f32_e32 v75, 0x3e3c28d5, v62
	v_add_f32_e32 v52, v72, v52
	v_fmac_f32_e32 v73, 0xbf2c7751, v59
	v_add_f32_e32 v68, v75, v68
	v_mul_f32_e32 v75, 0x3ee437d1, v64
	v_add_f32_e32 v52, v73, v52
	v_fmac_f32_e32 v74, 0xbe3c28d5, v62
	v_mov_b32_e32 v76, v75
	v_add_f32_e32 v52, v74, v52
	v_fmac_f32_e32 v75, 0x3f65296c, v65
	v_mul_f32_e32 v70, 0xbe8c1d8e, v43
	v_add_f32_e32 v69, v75, v52
	v_mov_b32_e32 v52, v70
	v_mul_f32_e32 v71, 0xbf59a7d5, v44
	v_fmac_f32_e32 v52, 0x3f763a35, v38
	v_mov_b32_e32 v72, v71
	v_add_f32_e32 v52, v28, v52
	v_fmac_f32_e32 v72, 0xbf06c442, v39
	v_add_f32_e32 v52, v52, v72
	v_mul_f32_e32 v72, 0x3f3d2fb0, v45
	v_mov_b32_e32 v73, v72
	v_fmac_f32_e32 v73, 0xbf2c7751, v40
	v_add_f32_e32 v52, v52, v73
	v_mul_f32_e32 v73, 0x3ee437d1, v46
	v_fmac_f32_e32 v70, 0xbf763a35, v38
	v_mov_b32_e32 v74, v73
	v_add_f32_e32 v70, v28, v70
	v_fmac_f32_e32 v71, 0x3f06c442, v39
	v_fmac_f32_e32 v74, 0x3f65296c, v41
	v_add_f32_e32 v70, v70, v71
	v_fmac_f32_e32 v72, 0x3f2c7751, v40
	v_add_f32_e32 v52, v52, v74
	v_mul_f32_e32 v74, 0xbf7ba420, v47
	v_add_f32_e32 v70, v70, v72
	v_fmac_f32_e32 v73, 0xbf65296c, v41
	v_mul_f32_e32 v71, 0x3dbcf732, v43
	v_mov_b32_e32 v75, v74
	v_add_f32_e32 v70, v70, v73
	v_fmac_f32_e32 v74, 0xbe3c28d5, v42
	v_mov_b32_e32 v72, v71
	v_mul_f32_e32 v73, 0xbf7ba420, v44
	v_fmac_f32_e32 v75, 0x3e3c28d5, v42
	v_add_f32_e32 v70, v74, v70
	v_fmac_f32_e32 v72, 0x3f7ee86f, v38
	v_mov_b32_e32 v74, v73
	v_fmac_f32_e32 v76, 0xbf65296c, v65
	v_add_f32_e32 v52, v75, v52
	v_mul_f32_e32 v75, 0x3dbcf732, v58
	v_add_f32_e32 v72, v28, v72
	v_fmac_f32_e32 v74, 0x3e3c28d5, v39
	v_add_f32_e32 v68, v76, v68
	v_mov_b32_e32 v76, v75
	v_fmac_f32_e32 v75, 0x3f7ee86f, v59
	v_add_f32_e32 v72, v72, v74
	v_mul_f32_e32 v74, 0xbe8c1d8e, v45
	v_fmac_f32_e32 v76, 0xbf7ee86f, v59
	v_add_f32_e32 v70, v75, v70
	v_mov_b32_e32 v75, v74
	v_add_f32_e32 v52, v76, v52
	v_mul_f32_e32 v76, 0x3f6eb680, v61
	v_fmac_f32_e32 v75, 0xbf763a35, v40
	v_mov_b32_e32 v77, v76
	v_fmac_f32_e32 v76, 0xbeb8f4ab, v62
	v_add_f32_e32 v72, v72, v75
	v_mul_f32_e32 v75, 0x3f6eb680, v46
	v_fmac_f32_e32 v71, 0xbf7ee86f, v38
	v_fmac_f32_e32 v77, 0x3eb8f4ab, v62
	v_add_f32_e32 v70, v76, v70
	v_mov_b32_e32 v76, v75
	v_add_f32_e32 v71, v28, v71
	v_fmac_f32_e32 v73, 0xbe3c28d5, v39
	v_add_f32_e32 v52, v77, v52
	v_mul_f32_e32 v77, 0xbf1a4643, v64
	v_fmac_f32_e32 v76, 0xbeb8f4ab, v41
	v_add_f32_e32 v71, v71, v73
	v_fmac_f32_e32 v74, 0x3f763a35, v40
	v_mov_b32_e32 v78, v77
	v_fmac_f32_e32 v77, 0xbf4c4adb, v65
	v_add_f32_e32 v72, v72, v76
	v_mul_f32_e32 v76, 0x3ee437d1, v47
	v_add_f32_e32 v71, v71, v74
	v_fmac_f32_e32 v75, 0x3eb8f4ab, v41
	v_mul_f32_e32 v73, 0x3ee437d1, v43
	v_add_f32_e32 v70, v77, v70
	v_mov_b32_e32 v77, v76
	v_add_f32_e32 v71, v71, v75
	v_fmac_f32_e32 v76, 0xbf65296c, v42
	v_mov_b32_e32 v74, v73
	v_mul_f32_e32 v75, 0xbf1a4643, v44
	v_fmac_f32_e32 v77, 0x3f65296c, v42
	v_add_f32_e32 v71, v76, v71
	v_fmac_f32_e32 v74, 0x3f65296c, v38
	v_mov_b32_e32 v76, v75
	v_fmac_f32_e32 v78, 0x3f4c4adb, v65
	v_add_f32_e32 v72, v77, v72
	v_mul_f32_e32 v77, 0xbf59a7d5, v58
	v_add_f32_e32 v74, v28, v74
	v_fmac_f32_e32 v76, 0x3f4c4adb, v39
	v_add_f32_e32 v52, v78, v52
	v_mov_b32_e32 v78, v77
	v_fmac_f32_e32 v77, 0xbf06c442, v59
	v_add_f32_e32 v74, v74, v76
	v_mul_f32_e32 v76, 0xbf7ba420, v45
	v_fmac_f32_e32 v78, 0x3f06c442, v59
	v_add_f32_e32 v71, v77, v71
	v_mov_b32_e32 v77, v76
	v_fmac_f32_e32 v73, 0xbf65296c, v38
	v_add_f32_e32 v72, v78, v72
	v_mul_f32_e32 v78, 0xbf1a4643, v61
	v_fmac_f32_e32 v77, 0xbe3c28d5, v40
	v_add_f32_e32 v73, v28, v73
	v_fmac_f32_e32 v75, 0xbf4c4adb, v39
	v_mul_f32_e32 v43, 0x3f3d2fb0, v43
	v_mov_b32_e32 v79, v78
	v_fmac_f32_e32 v78, 0x3f4c4adb, v62
	v_add_f32_e32 v74, v74, v77
	v_mul_f32_e32 v77, 0xbe8c1d8e, v46
	v_add_f32_e32 v73, v73, v75
	v_fmac_f32_e32 v76, 0x3e3c28d5, v40
	v_mov_b32_e32 v75, v43
	v_mul_f32_e32 v44, 0x3dbcf732, v44
	v_fmac_f32_e32 v79, 0xbf4c4adb, v62
	v_add_f32_e32 v71, v78, v71
	v_mov_b32_e32 v78, v77
	v_add_f32_e32 v73, v73, v76
	v_fmac_f32_e32 v75, 0x3f2c7751, v38
	v_mov_b32_e32 v76, v44
	v_add_f32_e32 v72, v79, v72
	v_mul_f32_e32 v79, 0x3f3d2fb0, v64
	v_fmac_f32_e32 v78, 0xbf763a35, v41
	v_add_f32_e32 v75, v28, v75
	v_fmac_f32_e32 v76, 0x3f7ee86f, v39
	v_mul_f32_e32 v45, 0xbf1a4643, v45
	v_mov_b32_e32 v80, v79
	v_fmac_f32_e32 v79, 0x3f2c7751, v65
	v_add_f32_e32 v74, v74, v78
	v_mul_f32_e32 v78, 0x3f3d2fb0, v47
	v_add_f32_e32 v75, v75, v76
	v_mov_b32_e32 v76, v45
	v_add_f32_e32 v71, v79, v71
	v_mov_b32_e32 v79, v78
	v_fmac_f32_e32 v76, 0x3f4c4adb, v40
	v_mul_f32_e32 v46, 0xbf7ba420, v46
	v_fmac_f32_e32 v79, 0xbf2c7751, v42
	v_add_f32_e32 v75, v75, v76
	v_mov_b32_e32 v76, v46
	v_fmac_f32_e32 v80, 0xbf2c7751, v65
	v_add_f32_e32 v74, v79, v74
	v_mul_f32_e32 v79, 0x3f6eb680, v58
	v_fmac_f32_e32 v76, 0x3e3c28d5, v41
	v_mul_f32_e32 v47, 0xbf59a7d5, v47
	v_fmac_f32_e32 v43, 0xbf2c7751, v38
	v_add_f32_e32 v72, v80, v72
	v_mov_b32_e32 v80, v79
	v_add_f32_e32 v75, v75, v76
	v_mov_b32_e32 v76, v47
	v_add_f32_e32 v43, v28, v43
	v_fmac_f32_e32 v44, 0xbf7ee86f, v39
	v_fmac_f32_e32 v53, 0x3eb8f4ab, v38
	;; [unrolled: 1-line block ×4, first 2 shown]
	v_mul_f32_e32 v58, 0xbe8c1d8e, v58
	v_add_f32_e32 v43, v43, v44
	v_fmac_f32_e32 v45, 0xbf4c4adb, v40
	v_fmac_f32_e32 v54, 0x3f2c7751, v39
	v_add_f32_e32 v28, v28, v53
	v_add_f32_e32 v74, v80, v74
	v_mul_f32_e32 v80, 0x3dbcf732, v61
	v_fmac_f32_e32 v77, 0x3f763a35, v41
	v_add_f32_e32 v75, v76, v75
	v_mov_b32_e32 v76, v58
	v_add_f32_e32 v43, v43, v45
	v_fmac_f32_e32 v46, 0xbe3c28d5, v41
	v_add_f32_e32 v28, v28, v54
	v_fmac_f32_e32 v55, 0x3f65296c, v40
	v_mov_b32_e32 v81, v80
	v_add_f32_e32 v73, v73, v77
	v_fmac_f32_e32 v78, 0x3f2c7751, v42
	v_fmac_f32_e32 v76, 0xbf763a35, v59
	v_mul_f32_e32 v61, 0x3ee437d1, v61
	v_add_f32_e32 v43, v43, v46
	v_fmac_f32_e32 v47, 0x3f06c442, v42
	v_add_f32_e32 v28, v28, v55
	v_fmac_f32_e32 v56, 0x3f7ee86f, v41
	v_fmac_f32_e32 v81, 0x3f7ee86f, v62
	v_add_f32_e32 v73, v78, v73
	v_fmac_f32_e32 v79, 0xbeb8f4ab, v59
	v_add_f32_e32 v75, v76, v75
	v_mov_b32_e32 v76, v61
	v_add_f32_e32 v43, v47, v43
	v_fmac_f32_e32 v58, 0x3f763a35, v59
	v_add_f32_e32 v28, v28, v56
	v_fmac_f32_e32 v57, 0x3f763a35, v42
	v_add_f32_e32 v74, v81, v74
	v_mul_f32_e32 v81, 0xbf59a7d5, v64
	v_add_f32_e32 v73, v79, v73
	v_fmac_f32_e32 v80, 0xbf7ee86f, v62
	v_fmac_f32_e32 v76, 0xbf65296c, v62
	v_mul_f32_e32 v64, 0x3f6eb680, v64
	v_add_f32_e32 v43, v58, v43
	v_fmac_f32_e32 v61, 0x3f65296c, v62
	v_add_f32_e32 v28, v57, v28
	v_fmac_f32_e32 v60, 0x3f4c4adb, v59
	v_mov_b32_e32 v82, v81
	v_add_f32_e32 v73, v80, v73
	v_fmac_f32_e32 v81, 0xbf06c442, v65
	v_add_f32_e32 v75, v76, v75
	v_mov_b32_e32 v76, v64
	v_add_f32_e32 v43, v61, v43
	v_fmac_f32_e32 v64, 0x3eb8f4ab, v65
	v_add_f32_e32 v28, v60, v28
	v_fmac_f32_e32 v63, 0x3f06c442, v62
	v_fmac_f32_e32 v82, 0x3f06c442, v65
	v_add_f32_e32 v73, v81, v73
	v_fmac_f32_e32 v76, 0xbeb8f4ab, v65
	v_add_f32_e32 v43, v64, v43
	v_add_f32_e32 v28, v63, v28
	v_fmac_f32_e32 v66, 0x3e3c28d5, v65
	v_add_f32_e32 v74, v82, v74
	v_add_f32_e32 v75, v76, v75
	;; [unrolled: 1-line block ×3, first 2 shown]
	ds_write2_b32 v48, v43, v73 offset0:2 offset1:3
	ds_write2_b32 v48, v71, v70 offset0:4 offset1:5
	;; [unrolled: 1-line block ×7, first 2 shown]
	ds_write_b32 v48, v28 offset:64
.LBB0_12:
	s_or_b64 exec, exec, s[2:3]
	v_lshlrev_b32_e32 v38, 2, v0
	v_add_u32_e32 v55, 0, v38
	v_add_u32_e32 v50, v55, v1
	;; [unrolled: 1-line block ×4, first 2 shown]
	s_waitcnt vmcnt(0) lgkmcnt(0)
	s_barrier
	v_add3_u32 v28, 0, v1, v38
	ds_read2_b32 v[48:49], v52 offset0:110 offset1:144
	ds_read2_b32 v[42:43], v50 offset0:34 offset1:68
	;; [unrolled: 1-line block ×6, first 2 shown]
	ds_read_b32 v53, v28
	ds_read_b32 v54, v50 offset:1768
	s_waitcnt lgkmcnt(0)
	s_barrier
	s_and_saveexec_b64 s[2:3], s[0:1]
	s_cbranch_execz .LBB0_14
; %bb.13:
	v_add_f32_e32 v56, v29, v35
	v_add_f32_e32 v56, v56, v31
	;; [unrolled: 1-line block ×14, first 2 shown]
	v_sub_f32_e32 v34, v34, v36
	v_add_f32_e32 v56, v33, v56
	v_add_f32_e32 v35, v35, v37
	v_mul_f32_e32 v36, 0xbeb8f4ab, v34
	s_mov_b32 s6, 0x3f6eb680
	v_mul_f32_e32 v57, 0xbf2c7751, v34
	s_mov_b32 s4, 0x3f3d2fb0
	;; [unrolled: 2-line block ×8, first 2 shown]
	v_sub_f32_e32 v30, v30, v32
	v_add_f32_e32 v56, v37, v56
	v_fma_f32 v37, v35, s6, -v36
	v_fmac_f32_e32 v36, 0x3f6eb680, v35
	v_fma_f32 v58, v35, s4, -v57
	v_fmac_f32_e32 v57, 0x3f3d2fb0, v35
	;; [unrolled: 2-line block ×8, first 2 shown]
	v_add_f32_e32 v31, v31, v33
	v_mul_f32_e32 v32, 0xbf2c7751, v30
	v_add_f32_e32 v37, v29, v37
	v_add_f32_e32 v36, v29, v36
	;; [unrolled: 1-line block ×16, first 2 shown]
	v_fma_f32 v33, v31, s4, -v32
	v_fmac_f32_e32 v32, 0x3f3d2fb0, v31
	v_mul_f32_e32 v34, 0xbf7ee86f, v30
	v_add_f32_e32 v32, v36, v32
	v_fma_f32 v35, v31, s0, -v34
	v_fmac_f32_e32 v34, 0x3dbcf732, v31
	v_mul_f32_e32 v36, 0xbf4c4adb, v30
	v_add_f32_e32 v33, v37, v33
	v_add_f32_e32 v34, v57, v34
	v_fma_f32 v37, v31, s7, -v36
	v_fmac_f32_e32 v36, 0xbf1a4643, v31
	v_mul_f32_e32 v57, 0xbe3c28d5, v30
	v_add_f32_e32 v35, v58, v35
	;; [unrolled: 5-line block ×4, first 2 shown]
	v_add_f32_e32 v59, v63, v59
	v_fma_f32 v62, v31, s5, -v61
	v_fmac_f32_e32 v61, 0xbe8c1d8e, v31
	v_mul_f32_e32 v63, 0x3f65296c, v30
	v_mul_f32_e32 v30, 0x3eb8f4ab, v30
	v_sub_f32_e32 v24, v24, v26
	v_add_f32_e32 v61, v65, v61
	v_fma_f32 v65, v31, s6, -v30
	v_fmac_f32_e32 v30, 0x3f6eb680, v31
	v_add_f32_e32 v25, v25, v27
	v_mul_f32_e32 v26, 0xbf65296c, v24
	v_add_f32_e32 v29, v29, v30
	v_fma_f32 v27, v25, s1, -v26
	v_fmac_f32_e32 v26, 0x3ee437d1, v25
	v_mul_f32_e32 v30, 0xbf4c4adb, v24
	v_add_f32_e32 v60, v64, v60
	v_fma_f32 v64, v31, s1, -v63
	v_fmac_f32_e32 v63, 0x3ee437d1, v31
	v_add_f32_e32 v26, v32, v26
	v_fma_f32 v31, v25, s7, -v30
	v_fmac_f32_e32 v30, 0xbf1a4643, v25
	v_mul_f32_e32 v32, 0x3e3c28d5, v24
	v_add_f32_e32 v27, v33, v27
	v_add_f32_e32 v30, v34, v30
	v_fma_f32 v33, v25, s11, -v32
	v_fmac_f32_e32 v32, 0xbf7ba420, v25
	v_mul_f32_e32 v34, 0x3f763a35, v24
	v_add_f32_e32 v31, v35, v31
	v_add_f32_e32 v32, v36, v32
	v_fma_f32 v35, v25, s5, -v34
	v_fmac_f32_e32 v34, 0xbe8c1d8e, v25
	v_mul_f32_e32 v36, 0x3f2c7751, v24
	v_add_f32_e32 v33, v37, v33
	v_add_f32_e32 v34, v57, v34
	v_fma_f32 v37, v25, s4, -v36
	v_fmac_f32_e32 v36, 0x3f3d2fb0, v25
	v_mul_f32_e32 v57, 0xbeb8f4ab, v24
	v_sub_f32_e32 v20, v20, v22
	v_add_f32_e32 v35, v58, v35
	v_add_f32_e32 v36, v59, v36
	v_fma_f32 v58, v25, s6, -v57
	v_fmac_f32_e32 v57, 0x3f6eb680, v25
	v_mul_f32_e32 v59, 0xbf7ee86f, v24
	v_mul_f32_e32 v24, 0xbf06c442, v24
	v_add_f32_e32 v21, v21, v23
	v_mul_f32_e32 v22, 0xbf7ee86f, v20
	v_add_f32_e32 v37, v60, v37
	v_add_f32_e32 v57, v61, v57
	v_fma_f32 v60, v25, s0, -v59
	v_fmac_f32_e32 v59, 0x3dbcf732, v25
	v_fma_f32 v61, v25, s10, -v24
	v_fmac_f32_e32 v24, 0xbf59a7d5, v25
	v_fma_f32 v23, v21, s0, -v22
	v_fmac_f32_e32 v22, 0x3dbcf732, v21
	v_mul_f32_e32 v25, 0xbe3c28d5, v20
	v_add_f32_e32 v23, v27, v23
	v_add_f32_e32 v22, v26, v22
	v_fma_f32 v26, v21, s11, -v25
	v_fmac_f32_e32 v25, 0xbf7ba420, v21
	v_mul_f32_e32 v27, 0x3f763a35, v20
	v_add_f32_e32 v24, v29, v24
	v_add_f32_e32 v25, v30, v25
	v_fma_f32 v29, v21, s5, -v27
	v_fmac_f32_e32 v27, 0xbe8c1d8e, v21
	v_mul_f32_e32 v30, 0x3eb8f4ab, v20
	v_add_f32_e32 v26, v31, v26
	v_add_f32_e32 v27, v32, v27
	v_fma_f32 v31, v21, s6, -v30
	v_fmac_f32_e32 v30, 0x3f6eb680, v21
	v_mul_f32_e32 v32, 0xbf65296c, v20
	v_add_f32_e32 v29, v33, v29
	v_add_f32_e32 v30, v34, v30
	v_fma_f32 v33, v21, s1, -v32
	v_fmac_f32_e32 v32, 0x3ee437d1, v21
	v_mul_f32_e32 v34, 0xbf06c442, v20
	v_sub_f32_e32 v16, v16, v18
	v_add_f32_e32 v31, v35, v31
	v_add_f32_e32 v32, v36, v32
	v_fma_f32 v35, v21, s10, -v34
	v_fmac_f32_e32 v34, 0xbf59a7d5, v21
	v_mul_f32_e32 v36, 0x3f4c4adb, v20
	v_mul_f32_e32 v20, 0x3f2c7751, v20
	v_add_f32_e32 v17, v17, v19
	v_mul_f32_e32 v18, 0xbf763a35, v16
	v_add_f32_e32 v33, v37, v33
	v_add_f32_e32 v34, v57, v34
	v_fma_f32 v37, v21, s7, -v36
	v_fmac_f32_e32 v36, 0xbf1a4643, v21
	v_fma_f32 v57, v21, s4, -v20
	v_fmac_f32_e32 v20, 0x3f3d2fb0, v21
	v_fma_f32 v19, v17, s5, -v18
	v_fmac_f32_e32 v18, 0xbe8c1d8e, v17
	v_mul_f32_e32 v21, 0x3f06c442, v16
	v_add_f32_e32 v19, v19, v23
	;; [unrolled: 38-line block ×5, first 2 shown]
	v_add_f32_e32 v6, v6, v10
	v_fma_f32 v10, v5, s6, -v9
	v_fmac_f32_e32 v9, 0x3f6eb680, v5
	v_mul_f32_e32 v11, 0xbf06c442, v4
	v_add_f32_e32 v62, v66, v62
	v_add_f32_e32 v64, v68, v64
	v_add_f32_e32 v63, v67, v63
	v_add_f32_e32 v65, v69, v65
	v_add_f32_e32 v8, v8, v12
	v_add_f32_e32 v9, v9, v13
	v_fma_f32 v12, v5, s10, -v11
	v_fmac_f32_e32 v11, 0xbf59a7d5, v5
	v_mul_f32_e32 v13, 0x3f2c7751, v4
	v_add_f32_e32 v58, v62, v58
	v_add_f32_e32 v60, v64, v60
	v_add_f32_e32 v59, v63, v59
	v_add_f32_e32 v61, v65, v61
	v_add_f32_e32 v10, v10, v14
	;; [unrolled: 9-line block ×4, first 2 shown]
	v_add_f32_e32 v15, v15, v19
	v_fma_f32 v18, v5, s1, -v17
	v_fmac_f32_e32 v17, 0x3ee437d1, v5
	v_mul_f32_e32 v19, 0xbf763a35, v4
	v_mul_f32_e32 v4, 0x3f7ee86f, v4
	v_add_f32_e32 v26, v26, v31
	v_add_f32_e32 v29, v29, v33
	;; [unrolled: 1-line block ×6, first 2 shown]
	v_fma_f32 v20, v5, s5, -v19
	v_fmac_f32_e32 v19, 0xbe8c1d8e, v5
	v_fma_f32 v21, v5, s0, -v4
	v_fmac_f32_e32 v4, 0x3dbcf732, v5
	v_lshlrev_b32_e32 v5, 6, v0
	v_add_f32_e32 v22, v22, v26
	v_add_f32_e32 v24, v24, v29
	;; [unrolled: 1-line block ×4, first 2 shown]
	v_add3_u32 v5, v55, v5, v1
	v_add_f32_e32 v18, v18, v22
	v_add_f32_e32 v20, v20, v24
	;; [unrolled: 1-line block ×5, first 2 shown]
	ds_write2_b32 v5, v56, v7 offset1:1
	ds_write2_b32 v5, v10, v12 offset0:2 offset1:3
	ds_write2_b32 v5, v14, v16 offset0:4 offset1:5
	;; [unrolled: 1-line block ×7, first 2 shown]
	ds_write_b32 v5, v6 offset:64
.LBB0_14:
	s_or_b64 exec, exec, s[2:3]
	v_subrev_u32_e32 v6, 17, v0
	v_cmp_gt_u32_e64 s[0:1], 17, v0
	v_cndmask_b32_e64 v9, v6, v0, s[0:1]
	v_mov_b32_e32 v10, 0
	v_lshlrev_b64 v[11:12], 3, v[9:10]
	v_mov_b32_e32 v6, s9
	v_add_co_u32_e64 v11, s[0:1], s8, v11
	v_addc_co_u32_e64 v12, s[0:1], v6, v12, s[0:1]
	v_add_u32_e32 v8, 0x44, v0
	s_movk_i32 s0, 0xf1
	v_mul_lo_u16_sdwa v13, v8, s0 dst_sel:DWORD dst_unused:UNUSED_PAD src0_sel:BYTE_0 src1_sel:DWORD
	v_add_u32_e32 v23, 34, v0
	v_lshrrev_b16_e32 v58, 12, v13
	v_add_u32_e32 v7, 0x66, v0
	v_mul_lo_u16_sdwa v6, v23, s0 dst_sel:DWORD dst_unused:UNUSED_PAD src0_sel:BYTE_0 src1_sel:DWORD
	v_mul_lo_u16_e32 v13, 17, v58
	v_lshrrev_b16_e32 v37, 12, v6
	v_sub_u16_e32 v59, v8, v13
	v_mul_lo_u16_sdwa v13, v7, s0 dst_sel:DWORD dst_unused:UNUSED_PAD src0_sel:BYTE_0 src1_sel:DWORD
	v_mul_lo_u16_e32 v6, 17, v37
	v_lshrrev_b16_e32 v60, 12, v13
	v_sub_u16_e32 v57, v23, v6
	v_mov_b32_e32 v24, 3
	v_mul_lo_u16_e32 v13, 17, v60
	v_add_u32_e32 v5, 0x88, v0
	v_lshlrev_b32_sdwa v6, v24, v57 dst_sel:DWORD dst_unused:UNUSED_PAD src0_sel:DWORD src1_sel:BYTE_0
	v_sub_u16_e32 v61, v7, v13
	v_add_u32_e32 v4, 0xaa, v0
	s_waitcnt lgkmcnt(0)
	s_barrier
	v_lshlrev_b32_sdwa v21, v24, v59 dst_sel:DWORD dst_unused:UNUSED_PAD src0_sel:DWORD src1_sel:BYTE_0
	v_lshlrev_b32_sdwa v22, v24, v61 dst_sel:DWORD dst_unused:UNUSED_PAD src0_sel:DWORD src1_sel:BYTE_0
	global_load_dwordx2 v[13:14], v[11:12], off
	global_load_dwordx2 v[15:16], v6, s[8:9]
	global_load_dwordx2 v[17:18], v21, s[8:9]
	;; [unrolled: 1-line block ×3, first 2 shown]
	v_mul_lo_u16_sdwa v6, v5, s0 dst_sel:DWORD dst_unused:UNUSED_PAD src0_sel:BYTE_0 src1_sel:DWORD
	v_lshrrev_b16_e32 v62, 12, v6
	v_mul_lo_u16_sdwa v11, v4, s0 dst_sel:DWORD dst_unused:UNUSED_PAD src0_sel:BYTE_0 src1_sel:DWORD
	v_mul_lo_u16_e32 v6, 17, v62
	v_lshrrev_b16_e32 v64, 12, v11
	v_sub_u16_e32 v63, v5, v6
	v_mul_lo_u16_e32 v21, 17, v64
	v_lshlrev_b32_sdwa v6, v24, v63 dst_sel:DWORD dst_unused:UNUSED_PAD src0_sel:DWORD src1_sel:BYTE_0
	v_sub_u16_e32 v65, v4, v21
	global_load_dwordx2 v[11:12], v6, s[8:9]
	v_lshlrev_b32_sdwa v6, v24, v65 dst_sel:DWORD dst_unused:UNUSED_PAD src0_sel:DWORD src1_sel:BYTE_0
	global_load_dwordx2 v[21:22], v6, s[8:9]
	v_add_u32_e32 v6, 0xcc, v0
	v_mul_lo_u16_sdwa v25, v6, s0 dst_sel:DWORD dst_unused:UNUSED_PAD src0_sel:BYTE_0 src1_sel:DWORD
	v_lshrrev_b16_e32 v66, 12, v25
	v_mul_lo_u16_e32 v25, 17, v66
	v_sub_u16_e32 v67, v6, v25
	v_lshlrev_b32_sdwa v24, v24, v67 dst_sel:DWORD dst_unused:UNUSED_PAD src0_sel:DWORD src1_sel:BYTE_0
	global_load_dwordx2 v[24:25], v24, s[8:9]
	ds_read2_b32 v[26:27], v52 offset0:110 offset1:144
	ds_read2_b32 v[29:30], v50 offset0:34 offset1:68
	;; [unrolled: 1-line block ×6, first 2 shown]
	ds_read_b32 v68, v28
	ds_read_b32 v69, v50 offset:1768
	v_cmp_lt_u32_e64 s[0:1], 16, v0
	v_lshlrev_b32_e32 v9, 2, v9
	s_movk_i32 s2, 0x88
	s_waitcnt vmcnt(0) lgkmcnt(0)
	s_barrier
	s_mov_b32 s3, 0x3eae86e6
	v_mul_f32_e32 v70, v26, v14
	v_mul_f32_e32 v14, v48, v14
	v_fmac_f32_e32 v70, v48, v13
	v_fma_f32 v13, v26, v13, -v14
	v_mul_f32_e32 v14, v27, v16
	v_mul_f32_e32 v26, v31, v18
	;; [unrolled: 1-line block ×6, first 2 shown]
	v_fmac_f32_e32 v14, v49, v15
	v_fmac_f32_e32 v26, v46, v17
	v_fma_f32 v17, v31, v17, -v18
	v_mul_f32_e32 v49, v35, v12
	v_mul_f32_e32 v12, v44, v12
	v_fmac_f32_e32 v48, v47, v19
	v_fma_f32 v18, v32, v19, -v20
	v_fmac_f32_e32 v49, v44, v11
	v_fma_f32 v11, v35, v11, -v12
	v_sub_f32_e32 v17, v30, v17
	v_sub_f32_e32 v11, v34, v11
	v_fma_f32 v15, v27, v15, -v16
	v_mul_f32_e32 v19, v69, v25
	v_mul_f32_e32 v20, v54, v25
	v_sub_f32_e32 v25, v43, v26
	v_fma_f32 v26, v43, 2.0, -v25
	v_fma_f32 v43, v30, 2.0, -v17
	v_sub_f32_e32 v30, v41, v49
	v_fma_f32 v31, v41, 2.0, -v30
	v_fma_f32 v41, v34, 2.0, -v11
	v_mov_b32_e32 v34, 0x88
	v_mul_f32_e32 v16, v36, v22
	v_mul_f32_e32 v12, v45, v22
	v_cndmask_b32_e64 v34, 0, v34, s[0:1]
	v_fmac_f32_e32 v16, v45, v21
	v_fma_f32 v12, v36, v21, -v12
	v_sub_f32_e32 v21, v53, v70
	v_add_u32_e32 v34, 0, v34
	v_fma_f32 v22, v53, 2.0, -v21
	v_add3_u32 v9, v34, v9, v1
	ds_write2_b32 v9, v22, v21 offset1:17
	v_mov_b32_e32 v22, 2
	v_sub_f32_e32 v14, v42, v14
	v_mad_u32_u24 v21, v37, s2, 0
	v_lshlrev_b32_sdwa v34, v22, v57 dst_sel:DWORD dst_unused:UNUSED_PAD src0_sel:DWORD src1_sel:BYTE_0
	v_fmac_f32_e32 v19, v54, v24
	v_fma_f32 v20, v69, v24, -v20
	v_fma_f32 v24, v42, 2.0, -v14
	v_add3_u32 v21, v21, v34, v1
	ds_write2_b32 v21, v24, v14 offset1:17
	v_mad_u32_u24 v14, v58, s2, 0
	v_lshlrev_b32_sdwa v24, v22, v59 dst_sel:DWORD dst_unused:UNUSED_PAD src0_sel:DWORD src1_sel:BYTE_0
	v_add3_u32 v14, v14, v24, v1
	ds_write2_b32 v14, v26, v25 offset1:17
	v_mad_u32_u24 v24, v60, s2, 0
	v_lshlrev_b32_sdwa v25, v22, v61 dst_sel:DWORD dst_unused:UNUSED_PAD src0_sel:DWORD src1_sel:BYTE_0
	v_add3_u32 v37, v24, v25, v1
	v_mad_u32_u24 v24, v62, s2, 0
	v_lshlrev_b32_sdwa v25, v22, v63 dst_sel:DWORD dst_unused:UNUSED_PAD src0_sel:DWORD src1_sel:BYTE_0
	v_sub_f32_e32 v15, v29, v15
	v_sub_f32_e32 v27, v40, v48
	;; [unrolled: 1-line block ×3, first 2 shown]
	v_add3_u32 v45, v24, v25, v1
	v_mad_u32_u24 v24, v64, s2, 0
	v_lshlrev_b32_sdwa v25, v22, v65 dst_sel:DWORD dst_unused:UNUSED_PAD src0_sel:DWORD src1_sel:BYTE_0
	v_fma_f32 v42, v29, 2.0, -v15
	v_fma_f32 v29, v40, 2.0, -v27
	v_fma_f32 v32, v38, 2.0, -v16
	v_add3_u32 v46, v24, v25, v1
	v_sub_f32_e32 v13, v68, v13
	v_sub_f32_e32 v18, v33, v18
	;; [unrolled: 1-line block ×3, first 2 shown]
	ds_write2_b32 v37, v29, v27 offset1:17
	ds_write2_b32 v45, v31, v30 offset1:17
	;; [unrolled: 1-line block ×3, first 2 shown]
	v_mad_u32_u24 v16, v66, s2, 0
	v_lshlrev_b32_sdwa v22, v22, v67 dst_sel:DWORD dst_unused:UNUSED_PAD src0_sel:DWORD src1_sel:BYTE_0
	v_fma_f32 v44, v68, 2.0, -v13
	v_fma_f32 v40, v33, 2.0, -v18
	v_sub_f32_e32 v12, v55, v12
	v_sub_f32_e32 v20, v56, v20
	v_fma_f32 v33, v39, 2.0, -v19
	v_add3_u32 v1, v16, v22, v1
	v_fma_f32 v38, v55, 2.0, -v12
	v_fma_f32 v39, v56, 2.0, -v20
	ds_write2_b32 v1, v33, v19 offset1:17
	s_waitcnt lgkmcnt(0)
	s_barrier
	ds_read2_b32 v[24:25], v50 offset0:34 offset1:68
	ds_read2_b32 v[26:27], v50 offset0:102 offset1:136
	ds_read2_b32 v[29:30], v50 offset0:170 offset1:204
	ds_read2_b32 v[31:32], v52 offset0:110 offset1:144
	ds_read2_b32 v[33:34], v51 offset0:50 offset1:84
	ds_read2_b32 v[35:36], v51 offset0:118 offset1:152
	ds_read_b32 v49, v28
	ds_read_b32 v53, v50 offset:1768
	s_waitcnt lgkmcnt(0)
	s_barrier
	ds_write2_b32 v9, v44, v13 offset1:17
	ds_write2_b32 v21, v42, v15 offset1:17
	;; [unrolled: 1-line block ×7, first 2 shown]
	v_mul_u32_u24_e32 v1, 6, v0
	v_lshlrev_b32_e32 v1, 3, v1
	s_waitcnt lgkmcnt(0)
	s_barrier
	global_load_dwordx4 v[11:14], v1, s[8:9] offset:136
	global_load_dwordx4 v[15:18], v1, s[8:9] offset:152
	;; [unrolled: 1-line block ×3, first 2 shown]
	ds_read2_b32 v[37:38], v50 offset0:34 offset1:68
	ds_read2_b32 v[39:40], v50 offset0:102 offset1:136
	;; [unrolled: 1-line block ×6, first 2 shown]
	ds_read_b32 v1, v28
	ds_read_b32 v9, v50 offset:1768
	s_mov_b32 s0, 0xbf5ff5aa
	s_mov_b32 s1, 0x3f3bfb3b
	;; [unrolled: 1-line block ×3, first 2 shown]
	s_waitcnt vmcnt(0) lgkmcnt(0)
	s_barrier
	v_mul_f32_e32 v54, v38, v12
	v_fmac_f32_e32 v54, v25, v11
	v_mul_f32_e32 v25, v25, v12
	v_fma_f32 v25, v38, v11, -v25
	v_mul_f32_e32 v38, v40, v14
	v_fmac_f32_e32 v38, v27, v13
	v_mul_f32_e32 v27, v27, v14
	v_fma_f32 v27, v40, v13, -v27
	;; [unrolled: 4-line block ×6, first 2 shown]
	v_mul_f32_e32 v48, v39, v12
	v_mul_f32_e32 v12, v26, v12
	v_fmac_f32_e32 v48, v26, v11
	v_fma_f32 v11, v39, v11, -v12
	v_mul_f32_e32 v12, v41, v14
	v_mul_f32_e32 v14, v29, v14
	v_fmac_f32_e32 v12, v29, v13
	v_fma_f32 v13, v41, v13, -v14
	;; [unrolled: 4-line block ×6, first 2 shown]
	v_add_f32_e32 v21, v54, v46
	v_add_f32_e32 v29, v38, v44
	;; [unrolled: 1-line block ×4, first 2 shown]
	v_sub_f32_e32 v27, v27, v34
	v_add_f32_e32 v34, v40, v42
	v_add_f32_e32 v35, v30, v32
	v_sub_f32_e32 v30, v32, v30
	v_add_f32_e32 v32, v29, v21
	v_sub_f32_e32 v33, v38, v44
	v_add_f32_e32 v38, v31, v22
	v_add_f32_e32 v32, v34, v32
	v_sub_f32_e32 v26, v54, v46
	v_sub_f32_e32 v25, v25, v36
	;; [unrolled: 1-line block ×9, first 2 shown]
	v_add_f32_e32 v34, v35, v38
	v_add_f32_e32 v35, v49, v32
	;; [unrolled: 1-line block ×4, first 2 shown]
	v_sub_f32_e32 v43, v36, v33
	v_sub_f32_e32 v44, v30, v27
	;; [unrolled: 1-line block ×3, first 2 shown]
	v_add_f32_e32 v1, v1, v34
	v_mov_b32_e32 v46, v35
	v_sub_f32_e32 v36, v26, v36
	v_sub_f32_e32 v30, v25, v30
	;; [unrolled: 1-line block ×3, first 2 shown]
	v_add_f32_e32 v25, v42, v25
	v_mul_f32_e32 v21, 0x3f4a47b2, v21
	v_mul_f32_e32 v22, 0x3f4a47b2, v22
	;; [unrolled: 1-line block ×6, first 2 shown]
	v_fmac_f32_e32 v46, 0xbf955555, v32
	v_mov_b32_e32 v32, v1
	v_add_f32_e32 v26, v41, v26
	v_mul_f32_e32 v41, 0x3d64c772, v31
	v_mul_f32_e32 v45, 0xbf5ff5aa, v27
	v_fmac_f32_e32 v32, 0xbf955555, v34
	v_fma_f32 v34, v39, s1, -v38
	v_fma_f32 v39, v39, s2, -v21
	v_fmac_f32_e32 v21, 0x3d64c772, v29
	v_fma_f32 v29, v40, s2, -v22
	v_fmac_f32_e32 v22, 0x3d64c772, v31
	;; [unrolled: 2-line block ×3, first 2 shown]
	v_fma_f32 v27, v27, s0, -v43
	v_fma_f32 v33, v36, s3, -v44
	;; [unrolled: 1-line block ×3, first 2 shown]
	v_add_f32_e32 v22, v22, v32
	v_add_f32_e32 v34, v34, v46
	;; [unrolled: 1-line block ×3, first 2 shown]
	v_fmac_f32_e32 v42, 0xbee1c552, v26
	v_fmac_f32_e32 v27, 0xbee1c552, v25
	;; [unrolled: 1-line block ×3, first 2 shown]
	v_add_f32_e32 v36, v38, v32
	v_add_f32_e32 v38, v39, v46
	v_fmac_f32_e32 v31, 0xbee1c552, v26
	v_sub_f32_e32 v26, v22, v42
	v_sub_f32_e32 v39, v29, v33
	;; [unrolled: 1-line block ×3, first 2 shown]
	v_add_f32_e32 v27, v27, v34
	v_add_f32_e32 v29, v33, v29
	;; [unrolled: 1-line block ×5, first 2 shown]
	v_sub_f32_e32 v9, v11, v9
	v_add_f32_e32 v11, v12, v18
	v_add_f32_e32 v41, v31, v36
	v_sub_f32_e32 v31, v36, v31
	v_add_f32_e32 v36, v13, v19
	v_sub_f32_e32 v12, v12, v18
	;; [unrolled: 2-line block ×3, first 2 shown]
	v_add_f32_e32 v16, v11, v22
	v_fmac_f32_e32 v43, 0xbeae86e6, v30
	v_fma_f32 v30, v30, s3, -v45
	v_sub_f32_e32 v13, v13, v19
	v_add_f32_e32 v19, v15, v17
	v_sub_f32_e32 v15, v17, v15
	v_add_f32_e32 v17, v36, v34
	v_add_f32_e32 v16, v18, v16
	;; [unrolled: 1-line block ×3, first 2 shown]
	v_fmac_f32_e32 v43, 0xbee1c552, v25
	v_fmac_f32_e32 v30, 0xbee1c552, v25
	v_sub_f32_e32 v20, v48, v20
	v_sub_f32_e32 v42, v36, v34
	;; [unrolled: 1-line block ×4, first 2 shown]
	v_add_f32_e32 v17, v19, v17
	v_add_f32_e32 v19, v24, v16
	v_add_f32_e32 v25, v43, v21
	v_add_f32_e32 v32, v30, v38
	v_sub_f32_e32 v30, v38, v30
	v_sub_f32_e32 v21, v21, v43
	;; [unrolled: 1-line block ×5, first 2 shown]
	v_add_f32_e32 v43, v14, v12
	v_add_f32_e32 v44, v15, v13
	v_sub_f32_e32 v45, v14, v12
	v_sub_f32_e32 v46, v15, v13
	;; [unrolled: 1-line block ×4, first 2 shown]
	v_add_f32_e32 v37, v37, v17
	v_mov_b32_e32 v47, v19
	v_sub_f32_e32 v14, v20, v14
	v_sub_f32_e32 v15, v9, v15
	v_add_f32_e32 v18, v43, v20
	v_add_f32_e32 v9, v44, v9
	v_mul_f32_e32 v20, 0x3f4a47b2, v22
	v_mul_f32_e32 v22, 0x3f4a47b2, v34
	;; [unrolled: 1-line block ×8, first 2 shown]
	v_fmac_f32_e32 v47, 0xbf955555, v16
	v_mov_b32_e32 v16, v37
	v_fmac_f32_e32 v16, 0xbf955555, v17
	v_fma_f32 v17, v38, s1, -v24
	v_fma_f32 v24, v42, s1, -v34
	;; [unrolled: 1-line block ×3, first 2 shown]
	v_fmac_f32_e32 v20, 0x3d64c772, v11
	v_fma_f32 v11, v42, s2, -v22
	v_fma_f32 v12, v12, s0, -v43
	v_fmac_f32_e32 v43, 0xbeae86e6, v14
	v_fma_f32 v13, v13, s0, -v44
	v_fmac_f32_e32 v44, 0xbeae86e6, v15
	v_fma_f32 v14, v14, s3, -v45
	v_fma_f32 v15, v15, s3, -v46
	v_fmac_f32_e32 v22, 0x3d64c772, v36
	v_add_f32_e32 v20, v20, v47
	v_add_f32_e32 v17, v17, v47
	;; [unrolled: 1-line block ×5, first 2 shown]
	v_fmac_f32_e32 v44, 0xbee1c552, v9
	v_fmac_f32_e32 v12, 0xbee1c552, v18
	;; [unrolled: 1-line block ×5, first 2 shown]
	v_add_f32_e32 v22, v22, v16
	v_fmac_f32_e32 v43, 0xbee1c552, v18
	v_add_f32_e32 v9, v44, v20
	v_add_f32_e32 v16, v15, v34
	v_sub_f32_e32 v38, v11, v14
	v_sub_f32_e32 v18, v17, v13
	v_add_f32_e32 v42, v12, v24
	v_add_f32_e32 v13, v13, v17
	v_sub_f32_e32 v45, v24, v12
	v_sub_f32_e32 v12, v34, v15
	v_add_f32_e32 v34, v14, v11
	v_sub_f32_e32 v11, v20, v44
	v_sub_f32_e32 v36, v22, v43
	v_add_f32_e32 v43, v43, v22
	ds_write2_b32 v50, v35, v25 offset1:34
	ds_write2_b32 v50, v32, v40 offset0:68 offset1:102
	ds_write2_b32 v50, v27, v30 offset0:136 offset1:170
	;; [unrolled: 1-line block ×6, first 2 shown]
	s_waitcnt lgkmcnt(0)
	s_barrier
	ds_read2_b32 v[17:18], v52 offset0:110 offset1:144
	ds_read2_b32 v[11:12], v50 offset0:34 offset1:68
	;; [unrolled: 1-line block ×6, first 2 shown]
	ds_read_b32 v9, v28
	ds_read_b32 v24, v50 offset:1768
	s_waitcnt lgkmcnt(0)
	s_barrier
	ds_write2_b32 v50, v1, v26 offset1:34
	ds_write2_b32 v50, v39, v41 offset0:68 offset1:102
	ds_write2_b32 v50, v31, v29 offset0:136 offset1:170
	;; [unrolled: 1-line block ×6, first 2 shown]
	s_waitcnt lgkmcnt(0)
	s_barrier
	s_and_saveexec_b64 s[0:1], vcc
	s_cbranch_execz .LBB0_16
; %bb.15:
	v_mov_b32_e32 v1, v10
	v_lshlrev_b64 v[25:26], 3, v[0:1]
	v_mov_b32_e32 v1, s9
	v_add_co_u32_e32 v25, vcc, s8, v25
	v_addc_co_u32_e32 v26, vcc, v1, v26, vcc
	global_load_dwordx2 v[29:30], v[25:26], off offset:3400
	global_load_dwordx2 v[31:32], v[25:26], off offset:3128
	;; [unrolled: 1-line block ×7, first 2 shown]
	v_mad_u64_u32 v[47:48], s[0:1], s12, v0, 0
	v_add_u32_e32 v10, 0x400, v50
	v_add_u32_e32 v53, 0x200, v50
	ds_read2_b32 v[25:26], v50 offset0:170 offset1:204
	ds_read2_b32 v[43:44], v50 offset0:102 offset1:136
	;; [unrolled: 1-line block ×3, first 2 shown]
	ds_read_b32 v55, v50 offset:1768
	ds_read_b32 v56, v28
	v_mov_b32_e32 v1, v48
	ds_read2_b32 v[49:50], v10 offset0:118 offset1:152
	ds_read2_b32 v[51:52], v10 offset0:50 offset1:84
	;; [unrolled: 1-line block ×3, first 2 shown]
	v_mad_u64_u32 v[27:28], s[0:1], s13, v0, v[1:2]
	v_mov_b32_e32 v57, s15
	v_mov_b32_e32 v48, v27
	s_waitcnt vmcnt(6)
	v_mul_f32_e32 v1, v24, v30
	s_waitcnt lgkmcnt(4)
	v_mul_f32_e32 v10, v55, v30
	s_waitcnt vmcnt(5)
	v_mul_f32_e32 v27, v22, v32
	s_waitcnt lgkmcnt(2)
	v_mul_f32_e32 v28, v50, v32
	s_waitcnt vmcnt(4)
	v_mul_f32_e32 v30, v21, v34
	v_mul_f32_e32 v32, v49, v34
	s_waitcnt vmcnt(3)
	v_mul_f32_e32 v34, v20, v36
	s_waitcnt lgkmcnt(1)
	v_mul_f32_e32 v36, v52, v36
	s_waitcnt vmcnt(1)
	v_mul_f32_e32 v59, v18, v40
	s_waitcnt lgkmcnt(0)
	v_mul_f32_e32 v40, v54, v40
	v_fma_f32 v1, v55, v29, -v1
	v_mul_f32_e32 v58, v19, v38
	v_mul_f32_e32 v38, v51, v38
	v_fmac_f32_e32 v10, v24, v29
	v_fma_f32 v24, v50, v31, -v27
	v_fmac_f32_e32 v28, v22, v31
	v_fma_f32 v27, v52, v35, -v34
	v_fmac_f32_e32 v36, v20, v35
	v_fmac_f32_e32 v40, v18, v39
	v_sub_f32_e32 v18, v26, v1
	s_waitcnt vmcnt(0)
	v_mul_f32_e32 v60, v17, v42
	v_mul_f32_e32 v42, v53, v42
	v_fmac_f32_e32 v38, v19, v37
	v_sub_f32_e32 v19, v15, v28
	v_sub_f32_e32 v28, v43, v27
	;; [unrolled: 1-line block ×3, first 2 shown]
	v_fma_f32 v36, v26, 2.0, -v18
	v_add_co_u32_e32 v26, vcc, s14, v2
	v_fma_f32 v22, v49, v33, -v30
	v_fmac_f32_e32 v32, v21, v33
	v_fma_f32 v31, v54, v39, -v59
	v_fma_f32 v33, v53, v41, -v60
	v_fmac_f32_e32 v42, v17, v41
	v_addc_co_u32_e32 v41, vcc, v57, v3, vcc
	v_add_u32_e32 v3, 0xee, v0
	v_sub_f32_e32 v21, v14, v32
	v_sub_f32_e32 v32, v45, v31
	;; [unrolled: 1-line block ×3, first 2 shown]
	v_lshlrev_b64 v[1:2], 3, v[47:48]
	v_mad_u64_u32 v[39:40], s[0:1], s12, v3, 0
	v_sub_f32_e32 v34, v56, v33
	v_sub_f32_e32 v33, v9, v42
	v_add_co_u32_e32 v1, vcc, v26, v1
	v_sub_f32_e32 v17, v16, v10
	v_fma_f32 v10, v56, 2.0, -v34
	v_fma_f32 v9, v9, 2.0, -v33
	v_addc_co_u32_e32 v2, vcc, v41, v2, vcc
	global_store_dwordx2 v[1:2], v[9:10], off
	v_mov_b32_e32 v1, v40
	v_mad_u64_u32 v[1:2], s[0:1], s13, v3, v[1:2]
	v_mad_u64_u32 v[2:3], s[0:1], s12, v23, 0
	v_mov_b32_e32 v40, v1
	v_lshlrev_b64 v[9:10], 3, v[39:40]
	v_mov_b32_e32 v1, v3
	v_mad_u64_u32 v[39:40], s[2:3], s13, v23, v[1:2]
	v_add_co_u32_e32 v9, vcc, v26, v9
	v_mov_b32_e32 v3, v39
	v_addc_co_u32_e32 v10, vcc, v41, v10, vcc
	v_lshlrev_b64 v[1:2], 3, v[2:3]
	v_add_u32_e32 v3, 0x110, v0
	s_mov_b32 s1, 0x44d72045
	global_store_dwordx2 v[9:10], v[33:34], off
	v_mad_u64_u32 v[9:10], s[2:3], s12, v3, 0
	v_mul_hi_u32 v23, v8, s1
	v_add_co_u32_e32 v0, vcc, v26, v1
	s_movk_i32 s0, 0xee
	v_addc_co_u32_e32 v1, vcc, v41, v2, vcc
	v_mov_b32_e32 v2, v10
	v_lshrrev_b32_e32 v10, 6, v23
	v_mad_u64_u32 v[33:34], s[2:3], v10, s0, v[8:9]
	v_mad_u64_u32 v[2:3], s[2:3], s13, v3, v[2:3]
	v_mad_u64_u32 v[39:40], s[2:3], s12, v33, 0
	v_mov_b32_e32 v10, v2
	v_fma_f32 v29, v51, v37, -v58
	v_mov_b32_e32 v2, v40
	v_mad_u64_u32 v[2:3], s[2:3], s13, v33, v[2:3]
	v_mul_hi_u32 v8, v7, s1
	v_sub_f32_e32 v30, v46, v29
	v_sub_f32_e32 v29, v12, v38
	v_fma_f32 v37, v12, 2.0, -v29
	v_fma_f32 v12, v45, 2.0, -v32
	;; [unrolled: 1-line block ×3, first 2 shown]
	global_store_dwordx2 v[0:1], v[11:12], off
	v_lshlrev_b64 v[0:1], 3, v[9:10]
	v_add_u32_e32 v9, 0xee, v33
	v_mov_b32_e32 v40, v2
	v_mad_u64_u32 v[2:3], s[2:3], s12, v9, 0
	v_lshrrev_b32_e32 v8, 6, v8
	v_mad_u64_u32 v[7:8], s[2:3], v8, s0, v[7:8]
	v_add_co_u32_e32 v0, vcc, v26, v0
	v_addc_co_u32_e32 v1, vcc, v41, v1, vcc
	v_mad_u64_u32 v[8:9], s[2:3], s13, v9, v[3:4]
	global_store_dwordx2 v[0:1], v[31:32], off
	v_lshlrev_b64 v[0:1], 3, v[39:40]
	v_mad_u64_u32 v[9:10], s[2:3], s12, v7, 0
	v_add_co_u32_e32 v0, vcc, v26, v0
	v_fma_f32 v38, v46, 2.0, -v30
	v_addc_co_u32_e32 v1, vcc, v41, v1, vcc
	v_mov_b32_e32 v3, v8
	global_store_dwordx2 v[0:1], v[37:38], off
	v_lshlrev_b64 v[0:1], 3, v[2:3]
	v_mov_b32_e32 v2, v10
	v_mad_u64_u32 v[2:3], s[2:3], s13, v7, v[2:3]
	v_add_co_u32_e32 v0, vcc, v26, v0
	v_addc_co_u32_e32 v1, vcc, v41, v1, vcc
	v_mov_b32_e32 v10, v2
	global_store_dwordx2 v[0:1], v[29:30], off
	v_lshlrev_b64 v[0:1], 3, v[9:10]
	v_add_u32_e32 v9, 0xee, v7
	v_mul_hi_u32 v7, v5, s1
	v_mad_u64_u32 v[2:3], s[2:3], s12, v9, 0
	v_add_co_u32_e32 v0, vcc, v26, v0
	v_lshrrev_b32_e32 v7, 6, v7
	v_mad_u64_u32 v[7:8], s[2:3], v7, s0, v[5:6]
	v_mad_u64_u32 v[8:9], s[2:3], s13, v9, v[3:4]
	;; [unrolled: 1-line block ×3, first 2 shown]
	v_sub_f32_e32 v20, v25, v24
	v_fma_f32 v24, v14, 2.0, -v21
	v_fma_f32 v14, v43, 2.0, -v28
	;; [unrolled: 1-line block ×3, first 2 shown]
	v_addc_co_u32_e32 v1, vcc, v41, v1, vcc
	v_mov_b32_e32 v3, v8
	global_store_dwordx2 v[0:1], v[13:14], off
	v_lshlrev_b64 v[0:1], 3, v[2:3]
	v_mov_b32_e32 v2, v10
	v_mul_hi_u32 v5, v4, s1
	v_mad_u64_u32 v[2:3], s[2:3], s13, v7, v[2:3]
	v_add_u32_e32 v7, 0xee, v7
	v_lshrrev_b32_e32 v5, 6, v5
	v_mov_b32_e32 v10, v2
	v_mad_u64_u32 v[2:3], s[2:3], s12, v7, 0
	v_mad_u64_u32 v[4:5], s[2:3], v5, s0, v[4:5]
	v_add_co_u32_e32 v0, vcc, v26, v0
	v_addc_co_u32_e32 v1, vcc, v41, v1, vcc
	v_mad_u64_u32 v[7:8], s[2:3], s13, v7, v[3:4]
	global_store_dwordx2 v[0:1], v[27:28], off
	v_lshlrev_b64 v[0:1], 3, v[9:10]
	v_mad_u64_u32 v[8:9], s[2:3], s12, v4, 0
	v_sub_f32_e32 v22, v44, v22
	v_add_co_u32_e32 v0, vcc, v26, v0
	v_fma_f32 v35, v16, 2.0, -v17
	v_fma_f32 v16, v25, 2.0, -v20
	v_fma_f32 v25, v44, 2.0, -v22
	v_addc_co_u32_e32 v1, vcc, v41, v1, vcc
	v_mov_b32_e32 v3, v7
	global_store_dwordx2 v[0:1], v[24:25], off
	v_lshlrev_b64 v[0:1], 3, v[2:3]
	v_mov_b32_e32 v2, v9
	v_mad_u64_u32 v[2:3], s[2:3], s13, v4, v[2:3]
	v_add_co_u32_e32 v0, vcc, v26, v0
	v_addc_co_u32_e32 v1, vcc, v41, v1, vcc
	v_mov_b32_e32 v9, v2
	v_add_u32_e32 v4, 0xee, v4
	global_store_dwordx2 v[0:1], v[21:22], off
	v_lshlrev_b64 v[0:1], 3, v[8:9]
	v_mad_u64_u32 v[2:3], s[2:3], s12, v4, 0
	v_add_co_u32_e32 v0, vcc, v26, v0
	v_mul_hi_u32 v5, v6, s1
	v_fma_f32 v15, v15, 2.0, -v19
	v_addc_co_u32_e32 v1, vcc, v41, v1, vcc
	global_store_dwordx2 v[0:1], v[15:16], off
	v_mov_b32_e32 v0, v3
	v_mad_u64_u32 v[0:1], s[2:3], s13, v4, v[0:1]
	v_lshrrev_b32_e32 v1, 6, v5
	v_mad_u64_u32 v[4:5], s[0:1], v1, s0, v[6:7]
	v_mov_b32_e32 v3, v0
	v_lshlrev_b64 v[0:1], 3, v[2:3]
	v_mad_u64_u32 v[2:3], s[0:1], s12, v4, 0
	v_add_co_u32_e32 v0, vcc, v26, v0
	v_mad_u64_u32 v[5:6], s[0:1], s13, v4, v[3:4]
	v_add_u32_e32 v4, 0xee, v4
	v_mad_u64_u32 v[6:7], s[0:1], s12, v4, 0
	v_addc_co_u32_e32 v1, vcc, v41, v1, vcc
	v_mov_b32_e32 v3, v5
	global_store_dwordx2 v[0:1], v[19:20], off
	v_lshlrev_b64 v[0:1], 3, v[2:3]
	v_mov_b32_e32 v2, v7
	v_mad_u64_u32 v[2:3], s[0:1], s13, v4, v[2:3]
	v_add_co_u32_e32 v0, vcc, v26, v0
	v_addc_co_u32_e32 v1, vcc, v41, v1, vcc
	v_mov_b32_e32 v7, v2
	global_store_dwordx2 v[0:1], v[35:36], off
	v_lshlrev_b64 v[0:1], 3, v[6:7]
	v_add_co_u32_e32 v0, vcc, v26, v0
	v_addc_co_u32_e32 v1, vcc, v41, v1, vcc
	global_store_dwordx2 v[0:1], v[17:18], off
.LBB0_16:
	s_endpgm
	.section	.rodata,"a",@progbits
	.p2align	6, 0x0
	.amdhsa_kernel fft_rtc_back_len476_factors_17_2_7_2_wgs_102_tpt_34_halfLds_sp_ip_CI_sbrr_dirReg
		.amdhsa_group_segment_fixed_size 0
		.amdhsa_private_segment_fixed_size 0
		.amdhsa_kernarg_size 88
		.amdhsa_user_sgpr_count 6
		.amdhsa_user_sgpr_private_segment_buffer 1
		.amdhsa_user_sgpr_dispatch_ptr 0
		.amdhsa_user_sgpr_queue_ptr 0
		.amdhsa_user_sgpr_kernarg_segment_ptr 1
		.amdhsa_user_sgpr_dispatch_id 0
		.amdhsa_user_sgpr_flat_scratch_init 0
		.amdhsa_user_sgpr_private_segment_size 0
		.amdhsa_uses_dynamic_stack 0
		.amdhsa_system_sgpr_private_segment_wavefront_offset 0
		.amdhsa_system_sgpr_workgroup_id_x 1
		.amdhsa_system_sgpr_workgroup_id_y 0
		.amdhsa_system_sgpr_workgroup_id_z 0
		.amdhsa_system_sgpr_workgroup_info 0
		.amdhsa_system_vgpr_workitem_id 0
		.amdhsa_next_free_vgpr 83
		.amdhsa_next_free_sgpr 24
		.amdhsa_reserve_vcc 1
		.amdhsa_reserve_flat_scratch 0
		.amdhsa_float_round_mode_32 0
		.amdhsa_float_round_mode_16_64 0
		.amdhsa_float_denorm_mode_32 3
		.amdhsa_float_denorm_mode_16_64 3
		.amdhsa_dx10_clamp 1
		.amdhsa_ieee_mode 1
		.amdhsa_fp16_overflow 0
		.amdhsa_exception_fp_ieee_invalid_op 0
		.amdhsa_exception_fp_denorm_src 0
		.amdhsa_exception_fp_ieee_div_zero 0
		.amdhsa_exception_fp_ieee_overflow 0
		.amdhsa_exception_fp_ieee_underflow 0
		.amdhsa_exception_fp_ieee_inexact 0
		.amdhsa_exception_int_div_zero 0
	.end_amdhsa_kernel
	.text
.Lfunc_end0:
	.size	fft_rtc_back_len476_factors_17_2_7_2_wgs_102_tpt_34_halfLds_sp_ip_CI_sbrr_dirReg, .Lfunc_end0-fft_rtc_back_len476_factors_17_2_7_2_wgs_102_tpt_34_halfLds_sp_ip_CI_sbrr_dirReg
                                        ; -- End function
	.section	.AMDGPU.csdata,"",@progbits
; Kernel info:
; codeLenInByte = 11164
; NumSgprs: 28
; NumVgprs: 83
; ScratchSize: 0
; MemoryBound: 0
; FloatMode: 240
; IeeeMode: 1
; LDSByteSize: 0 bytes/workgroup (compile time only)
; SGPRBlocks: 3
; VGPRBlocks: 20
; NumSGPRsForWavesPerEU: 28
; NumVGPRsForWavesPerEU: 83
; Occupancy: 3
; WaveLimiterHint : 1
; COMPUTE_PGM_RSRC2:SCRATCH_EN: 0
; COMPUTE_PGM_RSRC2:USER_SGPR: 6
; COMPUTE_PGM_RSRC2:TRAP_HANDLER: 0
; COMPUTE_PGM_RSRC2:TGID_X_EN: 1
; COMPUTE_PGM_RSRC2:TGID_Y_EN: 0
; COMPUTE_PGM_RSRC2:TGID_Z_EN: 0
; COMPUTE_PGM_RSRC2:TIDIG_COMP_CNT: 0
	.type	__hip_cuid_9e4f23972498bd1a,@object ; @__hip_cuid_9e4f23972498bd1a
	.section	.bss,"aw",@nobits
	.globl	__hip_cuid_9e4f23972498bd1a
__hip_cuid_9e4f23972498bd1a:
	.byte	0                               ; 0x0
	.size	__hip_cuid_9e4f23972498bd1a, 1

	.ident	"AMD clang version 19.0.0git (https://github.com/RadeonOpenCompute/llvm-project roc-6.4.0 25133 c7fe45cf4b819c5991fe208aaa96edf142730f1d)"
	.section	".note.GNU-stack","",@progbits
	.addrsig
	.addrsig_sym __hip_cuid_9e4f23972498bd1a
	.amdgpu_metadata
---
amdhsa.kernels:
  - .args:
      - .actual_access:  read_only
        .address_space:  global
        .offset:         0
        .size:           8
        .value_kind:     global_buffer
      - .offset:         8
        .size:           8
        .value_kind:     by_value
      - .actual_access:  read_only
        .address_space:  global
        .offset:         16
        .size:           8
        .value_kind:     global_buffer
      - .actual_access:  read_only
        .address_space:  global
        .offset:         24
        .size:           8
        .value_kind:     global_buffer
      - .offset:         32
        .size:           8
        .value_kind:     by_value
      - .actual_access:  read_only
        .address_space:  global
        .offset:         40
        .size:           8
        .value_kind:     global_buffer
      - .actual_access:  read_only
        .address_space:  global
        .offset:         48
        .size:           8
        .value_kind:     global_buffer
      - .offset:         56
        .size:           4
        .value_kind:     by_value
      - .actual_access:  read_only
        .address_space:  global
        .offset:         64
        .size:           8
        .value_kind:     global_buffer
      - .actual_access:  read_only
        .address_space:  global
        .offset:         72
        .size:           8
        .value_kind:     global_buffer
      - .address_space:  global
        .offset:         80
        .size:           8
        .value_kind:     global_buffer
    .group_segment_fixed_size: 0
    .kernarg_segment_align: 8
    .kernarg_segment_size: 88
    .language:       OpenCL C
    .language_version:
      - 2
      - 0
    .max_flat_workgroup_size: 102
    .name:           fft_rtc_back_len476_factors_17_2_7_2_wgs_102_tpt_34_halfLds_sp_ip_CI_sbrr_dirReg
    .private_segment_fixed_size: 0
    .sgpr_count:     28
    .sgpr_spill_count: 0
    .symbol:         fft_rtc_back_len476_factors_17_2_7_2_wgs_102_tpt_34_halfLds_sp_ip_CI_sbrr_dirReg.kd
    .uniform_work_group_size: 1
    .uses_dynamic_stack: false
    .vgpr_count:     83
    .vgpr_spill_count: 0
    .wavefront_size: 64
amdhsa.target:   amdgcn-amd-amdhsa--gfx906
amdhsa.version:
  - 1
  - 2
...

	.end_amdgpu_metadata
